;; amdgpu-corpus repo=ROCm/rocFFT kind=compiled arch=gfx1030 opt=O3
	.text
	.amdgcn_target "amdgcn-amd-amdhsa--gfx1030"
	.amdhsa_code_object_version 6
	.protected	fft_rtc_fwd_len90_factors_3_3_10_wgs_63_tpt_9_halfLds_dp_op_CI_CI_unitstride_sbrr_dirReg ; -- Begin function fft_rtc_fwd_len90_factors_3_3_10_wgs_63_tpt_9_halfLds_dp_op_CI_CI_unitstride_sbrr_dirReg
	.globl	fft_rtc_fwd_len90_factors_3_3_10_wgs_63_tpt_9_halfLds_dp_op_CI_CI_unitstride_sbrr_dirReg
	.p2align	8
	.type	fft_rtc_fwd_len90_factors_3_3_10_wgs_63_tpt_9_halfLds_dp_op_CI_CI_unitstride_sbrr_dirReg,@function
fft_rtc_fwd_len90_factors_3_3_10_wgs_63_tpt_9_halfLds_dp_op_CI_CI_unitstride_sbrr_dirReg: ; @fft_rtc_fwd_len90_factors_3_3_10_wgs_63_tpt_9_halfLds_dp_op_CI_CI_unitstride_sbrr_dirReg
; %bb.0:
	s_load_dwordx4 s[12:15], s[4:5], 0x0
	v_mul_u32_u24_e32 v1, 0x1c72, v0
	s_clause 0x1
	s_load_dwordx4 s[8:11], s[4:5], 0x58
	s_load_dwordx4 s[16:19], s[4:5], 0x18
	v_mov_b32_e32 v3, 0
	v_lshrrev_b32_e32 v4, 16, v1
	v_mov_b32_e32 v1, 0
	v_mov_b32_e32 v2, 0
	v_mad_u64_u32 v[18:19], null, s6, 7, v[4:5]
	v_mov_b32_e32 v19, v3
	v_mov_b32_e32 v65, v2
	;; [unrolled: 1-line block ×5, first 2 shown]
	s_waitcnt lgkmcnt(0)
	v_cmp_lt_u64_e64 s0, s[14:15], 2
	s_and_b32 vcc_lo, exec_lo, s0
	s_cbranch_vccnz .LBB0_8
; %bb.1:
	s_load_dwordx2 s[0:1], s[4:5], 0x10
	v_mov_b32_e32 v1, 0
	v_mov_b32_e32 v2, 0
	s_add_u32 s2, s18, 8
	v_mov_b32_e32 v5, v18
	s_addc_u32 s3, s19, 0
	v_mov_b32_e32 v6, v19
	v_mov_b32_e32 v65, v2
	s_add_u32 s6, s16, 8
	v_mov_b32_e32 v64, v1
	s_addc_u32 s7, s17, 0
	s_mov_b64 s[22:23], 1
	s_waitcnt lgkmcnt(0)
	s_add_u32 s20, s0, 8
	s_addc_u32 s21, s1, 0
.LBB0_2:                                ; =>This Inner Loop Header: Depth=1
	s_load_dwordx2 s[24:25], s[20:21], 0x0
                                        ; implicit-def: $vgpr66_vgpr67
	s_mov_b32 s0, exec_lo
	s_waitcnt lgkmcnt(0)
	v_or_b32_e32 v4, s25, v6
	v_cmpx_ne_u64_e32 0, v[3:4]
	s_xor_b32 s1, exec_lo, s0
	s_cbranch_execz .LBB0_4
; %bb.3:                                ;   in Loop: Header=BB0_2 Depth=1
	v_cvt_f32_u32_e32 v4, s24
	v_cvt_f32_u32_e32 v7, s25
	s_sub_u32 s0, 0, s24
	s_subb_u32 s26, 0, s25
	v_fmac_f32_e32 v4, 0x4f800000, v7
	v_rcp_f32_e32 v4, v4
	v_mul_f32_e32 v4, 0x5f7ffffc, v4
	v_mul_f32_e32 v7, 0x2f800000, v4
	v_trunc_f32_e32 v7, v7
	v_fmac_f32_e32 v4, 0xcf800000, v7
	v_cvt_u32_f32_e32 v7, v7
	v_cvt_u32_f32_e32 v4, v4
	v_mul_lo_u32 v8, s0, v7
	v_mul_hi_u32 v9, s0, v4
	v_mul_lo_u32 v10, s26, v4
	v_add_nc_u32_e32 v8, v9, v8
	v_mul_lo_u32 v9, s0, v4
	v_add_nc_u32_e32 v8, v8, v10
	v_mul_hi_u32 v10, v4, v9
	v_mul_lo_u32 v11, v4, v8
	v_mul_hi_u32 v12, v4, v8
	v_mul_hi_u32 v13, v7, v9
	v_mul_lo_u32 v9, v7, v9
	v_mul_hi_u32 v14, v7, v8
	v_mul_lo_u32 v8, v7, v8
	v_add_co_u32 v10, vcc_lo, v10, v11
	v_add_co_ci_u32_e32 v11, vcc_lo, 0, v12, vcc_lo
	v_add_co_u32 v9, vcc_lo, v10, v9
	v_add_co_ci_u32_e32 v9, vcc_lo, v11, v13, vcc_lo
	v_add_co_ci_u32_e32 v10, vcc_lo, 0, v14, vcc_lo
	v_add_co_u32 v8, vcc_lo, v9, v8
	v_add_co_ci_u32_e32 v9, vcc_lo, 0, v10, vcc_lo
	v_add_co_u32 v4, vcc_lo, v4, v8
	v_add_co_ci_u32_e32 v7, vcc_lo, v7, v9, vcc_lo
	v_mul_hi_u32 v8, s0, v4
	v_mul_lo_u32 v10, s26, v4
	v_mul_lo_u32 v9, s0, v7
	v_add_nc_u32_e32 v8, v8, v9
	v_mul_lo_u32 v9, s0, v4
	v_add_nc_u32_e32 v8, v8, v10
	v_mul_hi_u32 v10, v4, v9
	v_mul_lo_u32 v11, v4, v8
	v_mul_hi_u32 v12, v4, v8
	v_mul_hi_u32 v13, v7, v9
	v_mul_lo_u32 v9, v7, v9
	v_mul_hi_u32 v14, v7, v8
	v_mul_lo_u32 v8, v7, v8
	v_add_co_u32 v10, vcc_lo, v10, v11
	v_add_co_ci_u32_e32 v11, vcc_lo, 0, v12, vcc_lo
	v_add_co_u32 v9, vcc_lo, v10, v9
	v_add_co_ci_u32_e32 v9, vcc_lo, v11, v13, vcc_lo
	v_add_co_ci_u32_e32 v10, vcc_lo, 0, v14, vcc_lo
	v_add_co_u32 v8, vcc_lo, v9, v8
	v_add_co_ci_u32_e32 v9, vcc_lo, 0, v10, vcc_lo
	v_add_co_u32 v4, vcc_lo, v4, v8
	v_add_co_ci_u32_e32 v11, vcc_lo, v7, v9, vcc_lo
	v_mul_hi_u32 v13, v5, v4
	v_mad_u64_u32 v[9:10], null, v6, v4, 0
	v_mad_u64_u32 v[7:8], null, v5, v11, 0
	;; [unrolled: 1-line block ×3, first 2 shown]
	v_add_co_u32 v4, vcc_lo, v13, v7
	v_add_co_ci_u32_e32 v7, vcc_lo, 0, v8, vcc_lo
	v_add_co_u32 v4, vcc_lo, v4, v9
	v_add_co_ci_u32_e32 v4, vcc_lo, v7, v10, vcc_lo
	v_add_co_ci_u32_e32 v7, vcc_lo, 0, v12, vcc_lo
	v_add_co_u32 v4, vcc_lo, v4, v11
	v_add_co_ci_u32_e32 v9, vcc_lo, 0, v7, vcc_lo
	v_mul_lo_u32 v10, s25, v4
	v_mad_u64_u32 v[7:8], null, s24, v4, 0
	v_mul_lo_u32 v11, s24, v9
	v_sub_co_u32 v7, vcc_lo, v5, v7
	v_add3_u32 v8, v8, v11, v10
	v_sub_nc_u32_e32 v10, v6, v8
	v_subrev_co_ci_u32_e64 v10, s0, s25, v10, vcc_lo
	v_add_co_u32 v11, s0, v4, 2
	v_add_co_ci_u32_e64 v12, s0, 0, v9, s0
	v_sub_co_u32 v13, s0, v7, s24
	v_sub_co_ci_u32_e32 v8, vcc_lo, v6, v8, vcc_lo
	v_subrev_co_ci_u32_e64 v10, s0, 0, v10, s0
	v_cmp_le_u32_e32 vcc_lo, s24, v13
	v_cmp_eq_u32_e64 s0, s25, v8
	v_cndmask_b32_e64 v13, 0, -1, vcc_lo
	v_cmp_le_u32_e32 vcc_lo, s25, v10
	v_cndmask_b32_e64 v14, 0, -1, vcc_lo
	v_cmp_le_u32_e32 vcc_lo, s24, v7
	;; [unrolled: 2-line block ×3, first 2 shown]
	v_cndmask_b32_e64 v15, 0, -1, vcc_lo
	v_cmp_eq_u32_e32 vcc_lo, s25, v10
	v_cndmask_b32_e64 v7, v15, v7, s0
	v_cndmask_b32_e32 v10, v14, v13, vcc_lo
	v_add_co_u32 v13, vcc_lo, v4, 1
	v_add_co_ci_u32_e32 v14, vcc_lo, 0, v9, vcc_lo
	v_cmp_ne_u32_e32 vcc_lo, 0, v10
	v_cndmask_b32_e32 v8, v14, v12, vcc_lo
	v_cndmask_b32_e32 v10, v13, v11, vcc_lo
	v_cmp_ne_u32_e32 vcc_lo, 0, v7
	v_cndmask_b32_e32 v67, v9, v8, vcc_lo
	v_cndmask_b32_e32 v66, v4, v10, vcc_lo
.LBB0_4:                                ;   in Loop: Header=BB0_2 Depth=1
	s_andn2_saveexec_b32 s0, s1
	s_cbranch_execz .LBB0_6
; %bb.5:                                ;   in Loop: Header=BB0_2 Depth=1
	v_cvt_f32_u32_e32 v4, s24
	s_sub_i32 s1, 0, s24
	v_mov_b32_e32 v67, v3
	v_rcp_iflag_f32_e32 v4, v4
	v_mul_f32_e32 v4, 0x4f7ffffe, v4
	v_cvt_u32_f32_e32 v4, v4
	v_mul_lo_u32 v7, s1, v4
	v_mul_hi_u32 v7, v4, v7
	v_add_nc_u32_e32 v4, v4, v7
	v_mul_hi_u32 v4, v5, v4
	v_mul_lo_u32 v7, v4, s24
	v_add_nc_u32_e32 v8, 1, v4
	v_sub_nc_u32_e32 v7, v5, v7
	v_subrev_nc_u32_e32 v9, s24, v7
	v_cmp_le_u32_e32 vcc_lo, s24, v7
	v_cndmask_b32_e32 v7, v7, v9, vcc_lo
	v_cndmask_b32_e32 v4, v4, v8, vcc_lo
	v_cmp_le_u32_e32 vcc_lo, s24, v7
	v_add_nc_u32_e32 v8, 1, v4
	v_cndmask_b32_e32 v66, v4, v8, vcc_lo
.LBB0_6:                                ;   in Loop: Header=BB0_2 Depth=1
	s_or_b32 exec_lo, exec_lo, s0
	v_mul_lo_u32 v4, v67, s24
	v_mul_lo_u32 v9, v66, s25
	s_load_dwordx2 s[0:1], s[6:7], 0x0
	v_mad_u64_u32 v[7:8], null, v66, s24, 0
	s_load_dwordx2 s[24:25], s[2:3], 0x0
	s_add_u32 s22, s22, 1
	s_addc_u32 s23, s23, 0
	s_add_u32 s2, s2, 8
	s_addc_u32 s3, s3, 0
	s_add_u32 s6, s6, 8
	v_add3_u32 v4, v8, v9, v4
	v_sub_co_u32 v5, vcc_lo, v5, v7
	s_addc_u32 s7, s7, 0
	s_add_u32 s20, s20, 8
	v_sub_co_ci_u32_e32 v4, vcc_lo, v6, v4, vcc_lo
	s_addc_u32 s21, s21, 0
	s_waitcnt lgkmcnt(0)
	v_mul_lo_u32 v6, s0, v4
	v_mul_lo_u32 v7, s1, v5
	v_mad_u64_u32 v[1:2], null, s0, v5, v[1:2]
	v_mul_lo_u32 v4, s24, v4
	v_mul_lo_u32 v8, s25, v5
	v_mad_u64_u32 v[64:65], null, s24, v5, v[64:65]
	v_cmp_ge_u64_e64 s0, s[22:23], s[14:15]
	v_add3_u32 v2, v7, v2, v6
	v_add3_u32 v65, v8, v65, v4
	s_and_b32 vcc_lo, exec_lo, s0
	s_cbranch_vccnz .LBB0_8
; %bb.7:                                ;   in Loop: Header=BB0_2 Depth=1
	v_mov_b32_e32 v5, v66
	v_mov_b32_e32 v6, v67
	s_branch .LBB0_2
.LBB0_8:
	s_load_dwordx2 s[0:1], s[4:5], 0x28
	v_mul_hi_u32 v3, 0x1c71c71d, v0
	s_lshl_b64 s[4:5], s[14:15], 3
                                        ; implicit-def: $sgpr6
                                        ; implicit-def: $vgpr71
	s_add_u32 s2, s18, s4
	s_addc_u32 s3, s19, s5
	s_waitcnt lgkmcnt(0)
	v_cmp_gt_u64_e32 vcc_lo, s[0:1], v[66:67]
	v_cmp_le_u64_e64 s0, s[0:1], v[66:67]
	s_and_saveexec_b32 s1, s0
	s_xor_b32 s0, exec_lo, s1
; %bb.9:
	v_mul_u32_u24_e32 v1, 9, v3
	s_mov_b32 s6, 0
                                        ; implicit-def: $vgpr3
	v_sub_nc_u32_e32 v71, v0, v1
                                        ; implicit-def: $vgpr0
                                        ; implicit-def: $vgpr1_vgpr2
; %bb.10:
	s_or_saveexec_b32 s1, s0
	s_load_dwordx2 s[2:3], s[2:3], 0x0
	v_mov_b32_e32 v68, s6
                                        ; implicit-def: $vgpr50_vgpr51
                                        ; implicit-def: $vgpr46_vgpr47
                                        ; implicit-def: $vgpr42_vgpr43
                                        ; implicit-def: $vgpr26_vgpr27
                                        ; implicit-def: $vgpr34_vgpr35
                                        ; implicit-def: $vgpr22_vgpr23
                                        ; implicit-def: $vgpr12_vgpr13
                                        ; implicit-def: $vgpr30_vgpr31
                                        ; implicit-def: $vgpr16_vgpr17
                                        ; implicit-def: $vgpr8_vgpr9
                                        ; implicit-def: $vgpr38_vgpr39
                                        ; implicit-def: $vgpr4_vgpr5
	s_xor_b32 exec_lo, exec_lo, s1
	s_cbranch_execz .LBB0_14
; %bb.11:
	s_add_u32 s4, s16, s4
	s_addc_u32 s5, s17, s5
	v_lshlrev_b64 v[1:2], 4, v[1:2]
	s_load_dwordx2 s[4:5], s[4:5], 0x0
                                        ; implicit-def: $vgpr40_vgpr41
                                        ; implicit-def: $vgpr44_vgpr45
                                        ; implicit-def: $vgpr48_vgpr49
	s_waitcnt lgkmcnt(0)
	v_mul_lo_u32 v6, s5, v66
	v_mul_lo_u32 v7, s4, v67
	v_mad_u64_u32 v[4:5], null, s4, v66, 0
	s_mov_b32 s4, exec_lo
	v_add3_u32 v5, v5, v7, v6
	v_mul_u32_u24_e32 v6, 9, v3
	v_lshlrev_b64 v[3:4], 4, v[4:5]
	v_sub_nc_u32_e32 v71, v0, v6
	v_add_co_u32 v0, s0, s8, v3
	v_add_co_ci_u32_e64 v3, s0, s9, v4, s0
	v_lshlrev_b32_e32 v4, 4, v71
	v_add_co_u32 v0, s0, v0, v1
	v_add_co_ci_u32_e64 v1, s0, v3, v2, s0
	v_add_co_u32 v0, s0, v0, v4
	v_add_co_ci_u32_e64 v1, s0, 0, v1, s0
	s_clause 0x8
	global_load_dwordx4 v[2:5], v[0:1], off
	global_load_dwordx4 v[14:17], v[0:1], off offset:144
	global_load_dwordx4 v[6:9], v[0:1], off offset:960
	;; [unrolled: 1-line block ×8, first 2 shown]
	v_cmpx_gt_u32_e32 3, v71
; %bb.12:
	s_clause 0x2
	global_load_dwordx4 v[40:43], v[0:1], off offset:432
	global_load_dwordx4 v[44:47], v[0:1], off offset:912
	global_load_dwordx4 v[48:51], v[0:1], off offset:1392
; %bb.13:
	s_or_b32 exec_lo, exec_lo, s4
	v_mov_b32_e32 v68, v71
.LBB0_14:
	s_or_b32 exec_lo, exec_lo, s1
	s_waitcnt vmcnt(4)
	v_add_f64 v[0:1], v[6:7], v[36:37]
	s_waitcnt vmcnt(0)
	v_add_f64 v[54:55], v[24:25], v[32:33]
	v_add_f64 v[56:57], v[48:49], v[44:45]
	;; [unrolled: 1-line block ×3, first 2 shown]
	v_mul_hi_u32 v19, 0x24924925, v18
	v_add_f64 v[58:59], v[36:37], v[2:3]
	v_add_f64 v[60:61], v[38:39], -v[8:9]
	v_add_f64 v[62:63], v[28:29], v[14:15]
	v_add_f64 v[69:70], v[32:33], v[20:21]
	v_add_f64 v[74:75], v[30:31], -v[12:13]
	s_mov_b32 s0, 0xe8584caa
	s_mov_b32 s1, 0x3febb67a
	v_sub_nc_u32_e32 v72, v18, v19
	s_mov_b32 s5, 0xbfebb67a
	s_mov_b32 s4, s0
	v_lshrrev_b32_e32 v76, 1, v72
	v_add_f64 v[72:73], v[44:45], v[40:41]
	v_fma_f64 v[2:3], v[0:1], -0.5, v[2:3]
	v_add_nc_u32_e32 v0, v76, v19
	v_fma_f64 v[19:20], v[54:55], -0.5, v[20:21]
	v_add_f64 v[54:55], v[46:47], -v[50:51]
	v_fma_f64 v[40:41], v[56:57], -0.5, v[40:41]
	v_fma_f64 v[14:15], v[52:53], -0.5, v[14:15]
	v_add_f64 v[52:53], v[34:35], -v[26:27]
	v_lshrrev_b32_e32 v0, 2, v0
	v_add_f64 v[56:57], v[6:7], v[58:59]
	v_add_f64 v[58:59], v[10:11], v[62:63]
	v_add_f64 v[62:63], v[24:25], v[69:70]
	v_mul_lo_u32 v21, v0, 7
	v_add_f64 v[0:1], v[48:49], v[72:73]
	v_sub_nc_u32_e32 v18, v18, v21
	v_fma_f64 v[69:70], v[60:61], s[0:1], v[2:3]
	v_fma_f64 v[60:61], v[60:61], s[4:5], v[2:3]
	v_mul_u32_u24_e32 v18, 0x5a, v18
	v_fma_f64 v[2:3], v[54:55], s[0:1], v[40:41]
	v_fma_f64 v[40:41], v[54:55], s[4:5], v[40:41]
	;; [unrolled: 1-line block ×6, first 2 shown]
	v_mad_u32_u24 v14, v71, 24, 0
	v_lshlrev_b32_e32 v74, 3, v18
	v_cmp_gt_u32_e64 s0, 3, v71
	v_add_nc_u32_e32 v19, 0x1b0, v14
	v_add_nc_u32_e32 v15, v14, v74
	;; [unrolled: 1-line block ×3, first 2 shown]
	ds_write2_b64 v15, v[56:57], v[69:70] offset1:1
	ds_write2_b64 v15, v[58:59], v[72:73] offset0:27 offset1:28
	ds_write2_b64 v15, v[60:61], v[75:76] offset0:2 offset1:29
	ds_write2_b64 v14, v[62:63], v[77:78] offset1:1
	ds_write_b64 v14, v[20:21] offset:16
	s_and_saveexec_b32 s1, s0
	s_cbranch_execz .LBB0_16
; %bb.15:
	v_lshl_add_u32 v18, v18, 3, v19
	ds_write2_b64 v18, v[0:1], v[2:3] offset0:27 offset1:28
	ds_write_b64 v18, v[40:41] offset:232
.LBB0_16:
	s_or_b32 exec_lo, exec_lo, s1
	v_lshlrev_b32_e32 v18, 3, v71
	s_waitcnt lgkmcnt(0)
	s_barrier
	buffer_gl0_inv
	v_add_nc_u32_e32 v75, 0xd8, v15
	v_add3_u32 v72, 0, v74, v18
	v_add3_u32 v73, 0, v18, v74
	ds_read_b64 v[69:70], v72
	ds_read2_b64 v[56:59], v73 offset0:30 offset1:39
	ds_read2_b64 v[52:55], v73 offset0:48 offset1:60
	;; [unrolled: 1-line block ×4, first 2 shown]
	s_and_saveexec_b32 s1, s0
	s_cbranch_execz .LBB0_18
; %bb.17:
	ds_read2_b64 v[0:3], v73 offset0:27 offset1:57
	ds_read_b64 v[40:41], v73 offset:696
.LBB0_18:
	s_or_b32 exec_lo, exec_lo, s1
	v_add_f64 v[76:77], v[8:9], v[38:39]
	v_add_f64 v[82:83], v[50:51], v[46:47]
	;; [unrolled: 1-line block ×5, first 2 shown]
	v_add_f64 v[6:7], v[36:37], -v[6:7]
	v_add_f64 v[30:31], v[30:31], v[16:17]
	v_add_f64 v[34:35], v[34:35], v[22:23]
	;; [unrolled: 1-line block ×3, first 2 shown]
	v_add_f64 v[10:11], v[28:29], -v[10:11]
	v_add_f64 v[24:25], v[32:33], -v[24:25]
	;; [unrolled: 1-line block ×3, first 2 shown]
	s_mov_b32 s4, 0xe8584caa
	s_mov_b32 s5, 0xbfebb67a
	;; [unrolled: 1-line block ×4, first 2 shown]
	s_waitcnt lgkmcnt(0)
	s_barrier
	buffer_gl0_inv
	v_fma_f64 v[46:47], v[76:77], -0.5, v[4:5]
	v_fma_f64 v[32:33], v[82:83], -0.5, v[42:43]
	;; [unrolled: 1-line block ×4, first 2 shown]
	v_add_f64 v[8:9], v[8:9], v[38:39]
	v_add_f64 v[12:13], v[12:13], v[30:31]
	;; [unrolled: 1-line block ×4, first 2 shown]
	v_fma_f64 v[34:35], v[6:7], s[4:5], v[46:47]
	v_fma_f64 v[36:37], v[6:7], s[6:7], v[46:47]
	;; [unrolled: 1-line block ×8, first 2 shown]
	v_add_nc_u32_e32 v32, 27, v71
	ds_write2_b64 v15, v[8:9], v[34:35] offset1:1
	ds_write_b64 v15, v[36:37] offset:16
	ds_write2_b64 v75, v[12:13], v[38:39] offset1:1
	ds_write_b64 v75, v[10:11] offset:16
	;; [unrolled: 2-line block ×3, first 2 shown]
	s_and_saveexec_b32 s1, s0
	s_cbranch_execz .LBB0_20
; %bb.19:
	v_mul_u32_u24_e32 v8, 24, v32
	v_add3_u32 v8, 0, v8, v74
	ds_write2_b64 v8, v[4:5], v[6:7] offset1:1
	ds_write_b64 v8, v[30:31] offset:16
.LBB0_20:
	s_or_b32 exec_lo, exec_lo, s1
	s_waitcnt lgkmcnt(0)
	s_barrier
	buffer_gl0_inv
	ds_read_b64 v[16:17], v72
	ds_read2_b64 v[26:29], v73 offset0:30 offset1:39
	ds_read2_b64 v[22:25], v73 offset0:48 offset1:60
	;; [unrolled: 1-line block ×4, first 2 shown]
	s_and_saveexec_b32 s1, s0
	s_cbranch_execz .LBB0_22
; %bb.21:
	ds_read2_b64 v[4:7], v73 offset0:27 offset1:57
	ds_read_b64 v[30:31], v73 offset:696
.LBB0_22:
	s_or_b32 exec_lo, exec_lo, s1
	v_add_nc_u16 v33, v71, 9
	v_add_nc_u16 v34, v71, 18
	v_and_b32_e32 v35, 0xff, v71
	s_mov_b32 s4, 0xe8584caa
	s_mov_b32 s5, 0x3febb67a
	v_and_b32_e32 v36, 0xff, v33
	v_and_b32_e32 v37, 0xff, v34
	v_mul_lo_u16 v35, 0xab, v35
	s_mov_b32 s7, 0xbfebb67a
	s_mov_b32 s6, s4
	v_mul_lo_u16 v36, 0xab, v36
	v_mul_lo_u16 v37, 0xab, v37
	v_lshrrev_b16 v107, 9, v35
	v_lshrrev_b16 v108, 9, v36
	;; [unrolled: 1-line block ×3, first 2 shown]
	v_mul_lo_u16 v35, v107, 3
	v_mov_b32_e32 v37, 5
	v_mul_lo_u16 v36, v108, 3
	v_mul_lo_u16 v38, v109, 3
	v_sub_nc_u16 v110, v71, v35
	v_sub_nc_u16 v111, v33, v36
	;; [unrolled: 1-line block ×3, first 2 shown]
	v_lshlrev_b32_sdwa v33, v37, v110 dst_sel:DWORD dst_unused:UNUSED_PAD src0_sel:DWORD src1_sel:BYTE_0
	v_lshlrev_b32_sdwa v34, v37, v111 dst_sel:DWORD dst_unused:UNUSED_PAD src0_sel:DWORD src1_sel:BYTE_0
	;; [unrolled: 1-line block ×3, first 2 shown]
	s_clause 0x5
	global_load_dwordx4 v[46:49], v33, s[12:13]
	global_load_dwordx4 v[75:78], v33, s[12:13] offset:16
	global_load_dwordx4 v[79:82], v34, s[12:13]
	global_load_dwordx4 v[83:86], v34, s[12:13] offset:16
	;; [unrolled: 2-line block ×3, first 2 shown]
	v_and_b32_e32 v33, 0xff, v32
	v_mul_lo_u16 v33, 0xab, v33
	v_lshrrev_b16 v33, 9, v33
	v_mul_lo_u16 v33, v33, 3
	v_sub_nc_u16 v50, v32, v33
	v_lshlrev_b32_sdwa v32, v37, v50 dst_sel:DWORD dst_unused:UNUSED_PAD src0_sel:DWORD src1_sel:BYTE_0
	s_clause 0x1
	global_load_dwordx4 v[95:98], v32, s[12:13]
	global_load_dwordx4 v[99:102], v32, s[12:13] offset:16
	s_waitcnt vmcnt(0) lgkmcnt(0)
	s_barrier
	buffer_gl0_inv
	v_mul_f64 v[32:33], v[26:27], v[48:49]
	v_mul_f64 v[34:35], v[24:25], v[77:78]
	;; [unrolled: 1-line block ×12, first 2 shown]
	v_fma_f64 v[42:43], v[56:57], v[46:47], -v[32:33]
	v_fma_f64 v[44:45], v[54:55], v[75:76], -v[34:35]
	;; [unrolled: 1-line block ×6, first 2 shown]
	v_fma_f64 v[46:47], v[26:27], v[46:47], v[48:49]
	v_fma_f64 v[24:25], v[24:25], v[75:76], v[77:78]
	;; [unrolled: 1-line block ×6, first 2 shown]
	v_mul_f64 v[53:54], v[6:7], v[97:98]
	v_mul_f64 v[55:56], v[2:3], v[97:98]
	;; [unrolled: 1-line block ×3, first 2 shown]
	v_add_f64 v[59:60], v[69:70], v[42:43]
	v_add_f64 v[48:49], v[42:43], v[44:45]
	;; [unrolled: 1-line block ×6, first 2 shown]
	v_add_f64 v[61:62], v[46:47], -v[24:25]
	v_add_f64 v[79:80], v[28:29], -v[26:27]
	;; [unrolled: 1-line block ×3, first 2 shown]
	v_fma_f64 v[69:70], v[48:49], -0.5, v[69:70]
	v_fma_f64 v[48:49], v[2:3], v[95:96], -v[53:54]
	v_fma_f64 v[81:82], v[22:23], -0.5, v[18:19]
	v_fma_f64 v[22:23], v[6:7], v[95:96], v[55:56]
	v_fma_f64 v[19:20], v[51:52], -0.5, v[20:21]
	v_mul_f64 v[51:52], v[40:41], v[101:102]
	v_fma_f64 v[40:41], v[40:41], v[99:100], -v[57:58]
	v_add_f64 v[2:3], v[59:60], v[44:45]
	v_mov_b32_e32 v18, 3
	v_and_b32_e32 v21, 0xffff, v107
	v_add_f64 v[6:7], v[75:76], v[38:39]
	v_add_f64 v[54:55], v[77:78], v[36:37]
	v_lshlrev_b32_sdwa v53, v18, v110 dst_sel:DWORD dst_unused:UNUSED_PAD src0_sel:DWORD src1_sel:BYTE_0
	v_mad_u32_u24 v21, 0x48, v21, 0
	v_fma_f64 v[56:57], v[61:62], s[4:5], v[69:70]
	v_fma_f64 v[58:59], v[61:62], s[6:7], v[69:70]
	;; [unrolled: 1-line block ×7, first 2 shown]
	v_and_b32_e32 v51, 0xffff, v108
	v_and_b32_e32 v52, 0xffff, v109
	v_mad_u32_u24 v75, 0x48, v51, 0
	v_mad_u32_u24 v76, 0x48, v52, 0
	v_lshlrev_b32_sdwa v52, v18, v111 dst_sel:DWORD dst_unused:UNUSED_PAD src0_sel:DWORD src1_sel:BYTE_0
	v_add3_u32 v51, v21, v53, v74
	v_lshlrev_b32_sdwa v21, v18, v112 dst_sel:DWORD dst_unused:UNUSED_PAD src0_sel:DWORD src1_sel:BYTE_0
	v_add3_u32 v52, v75, v52, v74
	v_add3_u32 v53, v76, v21, v74
	ds_write2_b64 v51, v[2:3], v[56:57] offset1:3
	ds_write_b64 v51, v[58:59] offset:48
	ds_write2_b64 v52, v[6:7], v[60:61] offset1:3
	ds_write_b64 v52, v[62:63] offset:48
	;; [unrolled: 2-line block ×3, first 2 shown]
	s_and_saveexec_b32 s1, s0
	s_cbranch_execz .LBB0_24
; %bb.23:
	v_add_f64 v[2:3], v[48:49], v[40:41]
	v_add_f64 v[6:7], v[22:23], -v[30:31]
	v_add_f64 v[19:20], v[0:1], v[48:49]
	v_fma_f64 v[0:1], v[2:3], -0.5, v[0:1]
	v_add_f64 v[2:3], v[19:20], v[40:41]
	v_fma_f64 v[19:20], v[6:7], s[4:5], v[0:1]
	v_fma_f64 v[0:1], v[6:7], s[6:7], v[0:1]
	v_lshlrev_b32_sdwa v6, v18, v50 dst_sel:DWORD dst_unused:UNUSED_PAD src0_sel:DWORD src1_sel:BYTE_0
	v_add3_u32 v6, 0, v6, v74
	ds_write2_b64 v6, v[2:3], v[19:20] offset0:81 offset1:84
	ds_write_b64 v6, v[0:1] offset:696
.LBB0_24:
	s_or_b32 exec_lo, exec_lo, s1
	v_add_f64 v[0:1], v[46:47], v[24:25]
	v_add_f64 v[2:3], v[28:29], v[26:27]
	;; [unrolled: 1-line block ×4, first 2 shown]
	v_add_f64 v[20:21], v[42:43], -v[44:45]
	v_add_f64 v[28:29], v[8:9], v[28:29]
	v_add_f64 v[42:43], v[10:11], v[12:13]
	v_add_f64 v[34:35], v[34:35], -v[38:39]
	v_add_f64 v[32:33], v[32:33], -v[36:37]
	s_waitcnt lgkmcnt(0)
	s_barrier
	buffer_gl0_inv
	v_fma_f64 v[16:17], v[0:1], -0.5, v[16:17]
	v_fma_f64 v[38:39], v[2:3], -0.5, v[8:9]
	;; [unrolled: 1-line block ×3, first 2 shown]
	v_add_f64 v[24:25], v[18:19], v[24:25]
	ds_read2_b64 v[0:3], v73 offset0:9 offset1:18
	ds_read2_b64 v[6:9], v73 offset0:27 offset1:36
	;; [unrolled: 1-line block ×3, first 2 shown]
	v_add_f64 v[26:27], v[28:29], v[26:27]
	v_add_f64 v[28:29], v[42:43], v[14:15]
	v_fma_f64 v[42:43], v[20:21], s[6:7], v[16:17]
	v_fma_f64 v[44:45], v[20:21], s[4:5], v[16:17]
	ds_read2_b64 v[14:17], v73 offset0:63 offset1:72
	ds_read_b64 v[18:19], v72
	ds_read_b64 v[20:21], v73 offset:648
	v_fma_f64 v[46:47], v[34:35], s[6:7], v[38:39]
	v_fma_f64 v[34:35], v[34:35], s[4:5], v[38:39]
	;; [unrolled: 1-line block ×4, first 2 shown]
	s_waitcnt lgkmcnt(0)
	s_barrier
	buffer_gl0_inv
	ds_write2_b64 v51, v[24:25], v[42:43] offset1:3
	ds_write_b64 v51, v[44:45] offset:48
	ds_write2_b64 v52, v[26:27], v[46:47] offset1:3
	ds_write_b64 v52, v[34:35] offset:48
	;; [unrolled: 2-line block ×3, first 2 shown]
	s_and_saveexec_b32 s1, s0
	s_cbranch_execz .LBB0_26
; %bb.25:
	v_add_f64 v[24:25], v[22:23], v[30:31]
	v_add_f64 v[26:27], v[48:49], -v[40:41]
	s_mov_b32 s5, 0xbfebb67a
	s_mov_b32 s4, 0xe8584caa
	v_fma_f64 v[24:25], v[24:25], -0.5, v[4:5]
	v_add_f64 v[4:5], v[4:5], v[22:23]
	v_fma_f64 v[22:23], v[26:27], s[4:5], v[24:25]
	s_mov_b32 s5, 0x3febb67a
	v_add_f64 v[4:5], v[4:5], v[30:31]
	v_fma_f64 v[24:25], v[26:27], s[4:5], v[24:25]
	v_mov_b32_e32 v26, 3
	v_lshlrev_b32_sdwa v26, v26, v50 dst_sel:DWORD dst_unused:UNUSED_PAD src0_sel:DWORD src1_sel:BYTE_0
	v_add3_u32 v26, 0, v26, v74
	ds_write2_b64 v26, v[4:5], v[22:23] offset0:81 offset1:84
	ds_write_b64 v26, v[24:25] offset:696
.LBB0_26:
	s_or_b32 exec_lo, exec_lo, s1
	s_waitcnt lgkmcnt(0)
	s_barrier
	buffer_gl0_inv
	s_and_saveexec_b32 s0, vcc_lo
	s_cbranch_execz .LBB0_28
; %bb.27:
	v_mul_u32_u24_e32 v4, 9, v71
	v_mul_lo_u32 v106, s3, v66
	v_mul_lo_u32 v107, s2, v67
	s_mov_b32 s0, 0x134454ff
	s_mov_b32 s1, 0x3fee6f0e
	v_lshlrev_b32_e32 v4, 4, v4
	s_mov_b32 s9, 0xbfee6f0e
	s_mov_b32 s8, s0
	;; [unrolled: 1-line block ×4, first 2 shown]
	s_clause 0x8
	global_load_dwordx4 v[22:25], v4, s[12:13] offset:128
	global_load_dwordx4 v[26:29], v4, s[12:13] offset:160
	global_load_dwordx4 v[30:33], v4, s[12:13] offset:192
	global_load_dwordx4 v[34:37], v4, s[12:13] offset:224
	global_load_dwordx4 v[38:41], v4, s[12:13] offset:112
	global_load_dwordx4 v[42:45], v4, s[12:13] offset:144
	global_load_dwordx4 v[46:49], v4, s[12:13] offset:208
	global_load_dwordx4 v[50:53], v4, s[12:13] offset:96
	global_load_dwordx4 v[54:57], v4, s[12:13] offset:176
	ds_read2_b64 v[58:61], v73 offset0:27 offset1:36
	ds_read2_b64 v[74:77], v73 offset0:45 offset1:54
	ds_read_b64 v[4:5], v73 offset:648
	ds_read2_b64 v[78:81], v73 offset0:63 offset1:72
	ds_read2_b64 v[82:85], v73 offset0:9 offset1:18
	ds_read_b64 v[62:63], v72
	s_mov_b32 s13, 0xbfe2cf23
	s_mov_b32 s6, 0x9b97f4a8
	;; [unrolled: 1-line block ×3, first 2 shown]
	s_waitcnt vmcnt(8) lgkmcnt(5)
	v_mul_f64 v[69:70], v[58:59], v[24:25]
	s_waitcnt vmcnt(7) lgkmcnt(4)
	v_mul_f64 v[71:72], v[74:75], v[28:29]
	v_mul_f64 v[24:25], v[6:7], v[24:25]
	;; [unrolled: 1-line block ×3, first 2 shown]
	s_waitcnt vmcnt(6)
	v_mul_f64 v[86:87], v[14:15], v[32:33]
	s_waitcnt vmcnt(5)
	v_mul_f64 v[88:89], v[20:21], v[36:37]
	s_waitcnt lgkmcnt(3)
	v_mul_f64 v[36:37], v[4:5], v[36:37]
	s_waitcnt lgkmcnt(2)
	v_mul_f64 v[32:33], v[78:79], v[32:33]
	s_waitcnt vmcnt(3)
	v_mul_f64 v[92:93], v[8:9], v[44:45]
	s_waitcnt vmcnt(1) lgkmcnt(1)
	v_mul_f64 v[96:97], v[82:83], v[52:53]
	v_mul_f64 v[52:53], v[0:1], v[52:53]
	;; [unrolled: 1-line block ×4, first 2 shown]
	v_fma_f64 v[6:7], v[6:7], v[22:23], -v[69:70]
	v_fma_f64 v[10:11], v[10:11], v[26:27], -v[71:72]
	v_fma_f64 v[22:23], v[22:23], v[58:59], v[24:25]
	v_fma_f64 v[24:25], v[26:27], v[74:75], v[28:29]
	;; [unrolled: 1-line block ×4, first 2 shown]
	v_fma_f64 v[20:21], v[20:21], v[34:35], -v[36:37]
	v_fma_f64 v[14:15], v[14:15], v[30:31], -v[32:33]
	s_waitcnt vmcnt(0)
	v_mul_f64 v[28:29], v[12:13], v[56:57]
	v_mul_f64 v[30:31], v[60:61], v[44:45]
	;; [unrolled: 1-line block ×5, first 2 shown]
	v_mad_u64_u32 v[40:41], null, s2, v66, 0
	v_fma_f64 v[48:49], v[60:61], v[42:43], v[92:93]
	v_fma_f64 v[0:1], v[0:1], v[50:51], -v[96:97]
	v_fma_f64 v[50:51], v[50:51], v[82:83], v[52:53]
	v_fma_f64 v[44:45], v[84:85], v[38:39], v[90:91]
	;; [unrolled: 1-line block ×3, first 2 shown]
	s_mov_b32 s2, 0x4755a5e
	s_mov_b32 s3, 0x3fe2cf23
	;; [unrolled: 1-line block ×3, first 2 shown]
	v_add_f64 v[72:73], v[6:7], -v[10:11]
	v_add_f64 v[86:87], v[10:11], -v[6:7]
	;; [unrolled: 1-line block ×3, first 2 shown]
	v_add_f64 v[52:53], v[24:25], v[26:27]
	v_add_f64 v[58:59], v[22:23], v[4:5]
	;; [unrolled: 1-line block ×4, first 2 shown]
	v_fma_f64 v[28:29], v[76:77], v[54:55], v[28:29]
	v_fma_f64 v[8:9], v[8:9], v[42:43], -v[30:31]
	v_fma_f64 v[12:13], v[12:13], v[54:55], -v[32:33]
	v_fma_f64 v[2:3], v[2:3], v[38:39], -v[34:35]
	v_fma_f64 v[16:17], v[16:17], v[46:47], -v[36:37]
	v_add_f64 v[30:31], v[22:23], -v[4:5]
	v_add_f64 v[32:33], v[24:25], -v[26:27]
	;; [unrolled: 1-line block ×7, first 2 shown]
	v_add_f64 v[84:85], v[44:45], v[56:57]
	v_add_f64 v[88:89], v[14:15], -v[20:21]
	v_add_f64 v[92:93], v[26:27], -v[4:5]
	v_add_f64 v[22:23], v[22:23], v[50:51]
	s_waitcnt lgkmcnt(0)
	v_add_f64 v[94:95], v[44:45], v[62:63]
	v_add_f64 v[54:55], v[44:45], -v[48:49]
	v_fma_f64 v[38:39], v[52:53], -0.5, v[50:51]
	v_fma_f64 v[42:43], v[58:59], -0.5, v[50:51]
	;; [unrolled: 1-line block ×4, first 2 shown]
	v_add_f64 v[66:67], v[48:49], v[28:29]
	v_add_f64 v[0:1], v[6:7], v[0:1]
	;; [unrolled: 1-line block ×3, first 2 shown]
	v_add_f64 v[58:59], v[56:57], -v[28:29]
	v_add_f64 v[50:51], v[2:3], v[16:17]
	v_add_f64 v[60:61], v[8:9], -v[12:13]
	v_add_f64 v[70:71], v[2:3], -v[16:17]
	;; [unrolled: 1-line block ×5, first 2 shown]
	v_add_f64 v[76:77], v[76:77], v[78:79]
	v_add_f64 v[78:79], v[18:19], v[2:3]
	;; [unrolled: 1-line block ×3, first 2 shown]
	v_add_f64 v[6:7], v[2:3], -v[8:9]
	v_add_f64 v[2:3], v[8:9], -v[2:3]
	v_add_f64 v[22:23], v[24:25], v[22:23]
	v_add_f64 v[74:75], v[16:17], -v[12:13]
	v_add3_u32 v41, v41, v107, v106
	v_fma_f64 v[98:99], v[36:37], s[0:1], v[38:39]
	v_fma_f64 v[38:39], v[36:37], s[8:9], v[38:39]
	;; [unrolled: 1-line block ×8, first 2 shown]
	v_fma_f64 v[66:67], v[66:67], -0.5, v[62:63]
	v_fma_f64 v[62:63], v[84:85], -0.5, v[62:63]
	v_add_f64 v[84:85], v[86:87], v[88:89]
	v_add_f64 v[86:87], v[90:91], v[92:93]
	v_fma_f64 v[88:89], v[96:97], -0.5, v[18:19]
	v_fma_f64 v[18:19], v[50:51], -0.5, v[18:19]
	v_add_f64 v[0:1], v[10:11], v[0:1]
	v_add_f64 v[8:9], v[78:79], v[8:9]
	v_add_f64 v[50:51], v[12:13], -v[16:17]
	v_mov_b32_e32 v69, 0
	v_add_f64 v[22:23], v[26:27], v[22:23]
	v_add_f64 v[6:7], v[6:7], v[74:75]
	v_fma_f64 v[90:91], v[34:35], s[2:3], v[98:99]
	v_fma_f64 v[34:35], v[34:35], s[12:13], v[38:39]
	;; [unrolled: 1-line block ×5, first 2 shown]
	v_add_f64 v[52:53], v[48:49], -v[28:29]
	v_fma_f64 v[92:93], v[36:37], s[2:3], v[100:101]
	v_fma_f64 v[36:37], v[36:37], s[12:13], v[42:43]
	;; [unrolled: 1-line block ×3, first 2 shown]
	v_add_f64 v[42:43], v[48:49], v[94:95]
	v_add_f64 v[38:39], v[54:55], v[58:59]
	v_fma_f64 v[10:11], v[70:71], s[0:1], v[66:67]
	v_fma_f64 v[24:25], v[60:61], s[8:9], v[62:63]
	;; [unrolled: 1-line block ×5, first 2 shown]
	v_add_f64 v[8:9], v[8:9], v[12:13]
	v_add_f64 v[0:1], v[14:15], v[0:1]
	v_add_f64 v[2:3], v[2:3], v[50:51]
	v_add_f64 v[4:5], v[4:5], v[22:23]
	v_fma_f64 v[58:59], v[76:77], s[4:5], v[90:91]
	v_fma_f64 v[34:35], v[76:77], s[4:5], v[34:35]
	;; [unrolled: 1-line block ×5, first 2 shown]
	v_add_f64 v[72:73], v[80:81], v[82:83]
	v_fma_f64 v[80:81], v[52:53], s[0:1], v[18:19]
	v_fma_f64 v[18:19], v[52:53], s[8:9], v[18:19]
	;; [unrolled: 1-line block ×6, first 2 shown]
	v_add_f64 v[28:29], v[28:29], v[42:43]
	v_fma_f64 v[12:13], v[70:71], s[2:3], v[24:25]
	v_fma_f64 v[14:15], v[70:71], s[12:13], v[46:47]
	;; [unrolled: 1-line block ×5, first 2 shown]
	v_add_f64 v[8:9], v[16:17], v[8:9]
	v_add_f64 v[16:17], v[20:21], v[0:1]
	v_lshlrev_b64 v[0:1], 4, v[40:41]
	v_mul_f64 v[42:43], v[58:59], s[6:7]
	v_mul_f64 v[48:49], v[66:67], s[8:9]
	;; [unrolled: 1-line block ×4, first 2 shown]
	v_fma_f64 v[50:51], v[44:45], s[12:13], v[80:81]
	v_fma_f64 v[18:19], v[44:45], s[2:3], v[18:19]
	;; [unrolled: 1-line block ×3, first 2 shown]
	v_mul_f64 v[52:53], v[34:35], s[2:3]
	v_mul_f64 v[46:47], v[62:63], s[4:5]
	v_mul_f64 v[70:71], v[36:37], s[0:1]
	v_mul_f64 v[74:75], v[30:31], s[4:5]
	v_add_f64 v[28:29], v[56:57], v[28:29]
	v_fma_f64 v[12:13], v[72:73], s[4:5], v[12:13]
	v_fma_f64 v[56:57], v[72:73], s[4:5], v[14:15]
	;; [unrolled: 1-line block ×5, first 2 shown]
	v_fma_f64 v[26:27], v[32:33], s[12:13], -v[42:43]
	v_fma_f64 v[32:33], v[36:37], s[4:5], v[48:49]
	v_fma_f64 v[36:37], v[34:35], s[6:7], v[54:55]
	v_fma_f64 v[42:43], v[58:59], s[2:3], -v[60:61]
	v_add_co_u32 v60, vcc_lo, s10, v0
	v_fma_f64 v[40:41], v[2:3], s[4:5], v[50:51]
	v_fma_f64 v[44:45], v[6:7], s[4:5], v[44:45]
	v_fma_f64 v[48:49], v[78:79], s[6:7], v[52:53]
	v_fma_f64 v[30:31], v[30:31], s[8:9], -v[46:47]
	v_fma_f64 v[46:47], v[2:3], s[4:5], v[18:19]
	v_fma_f64 v[50:51], v[66:67], s[4:5], v[70:71]
	v_fma_f64 v[52:53], v[62:63], s[0:1], -v[74:75]
	v_add_f64 v[2:3], v[28:29], -v[4:5]
	v_add_f64 v[6:7], v[28:29], v[4:5]
	v_add_f64 v[4:5], v[8:9], v[16:17]
	v_add_co_ci_u32_e32 v61, vcc_lo, s11, v1, vcc_lo
	v_add_f64 v[0:1], v[8:9], -v[16:17]
	v_lshlrev_b64 v[54:55], 4, v[64:65]
	v_lshlrev_b64 v[58:59], 4, v[68:69]
	v_add_f64 v[10:11], v[20:21], -v[26:27]
	v_add_f64 v[26:27], v[20:21], v[26:27]
	v_add_f64 v[18:19], v[56:57], -v[32:33]
	v_add_f64 v[22:23], v[24:25], -v[36:37]
	v_add_f64 v[38:39], v[24:25], v[36:37]
	v_add_f64 v[34:35], v[56:57], v[32:33]
	;; [unrolled: 1-line block ×3, first 2 shown]
	v_add_f64 v[8:9], v[72:73], -v[42:43]
	v_add_f64 v[36:37], v[44:45], v[48:49]
	v_add_f64 v[14:15], v[12:13], -v[30:31]
	v_add_f64 v[30:31], v[12:13], v[30:31]
	v_add_f64 v[32:33], v[46:47], v[50:51]
	;; [unrolled: 1-line block ×3, first 2 shown]
	v_add_f64 v[20:21], v[44:45], -v[48:49]
	v_add_f64 v[16:17], v[46:47], -v[50:51]
	;; [unrolled: 1-line block ×3, first 2 shown]
	v_add_co_u32 v40, vcc_lo, v60, v54
	v_add_co_ci_u32_e32 v41, vcc_lo, v61, v55, vcc_lo
	v_add_co_u32 v40, vcc_lo, v40, v58
	v_add_co_ci_u32_e32 v41, vcc_lo, v41, v59, vcc_lo
	global_store_dwordx4 v[40:41], v[4:7], off
	global_store_dwordx4 v[40:41], v[0:3], off offset:720
	global_store_dwordx4 v[40:41], v[36:39], off offset:144
	;; [unrolled: 1-line block ×9, first 2 shown]
.LBB0_28:
	s_endpgm
	.section	.rodata,"a",@progbits
	.p2align	6, 0x0
	.amdhsa_kernel fft_rtc_fwd_len90_factors_3_3_10_wgs_63_tpt_9_halfLds_dp_op_CI_CI_unitstride_sbrr_dirReg
		.amdhsa_group_segment_fixed_size 0
		.amdhsa_private_segment_fixed_size 0
		.amdhsa_kernarg_size 104
		.amdhsa_user_sgpr_count 6
		.amdhsa_user_sgpr_private_segment_buffer 1
		.amdhsa_user_sgpr_dispatch_ptr 0
		.amdhsa_user_sgpr_queue_ptr 0
		.amdhsa_user_sgpr_kernarg_segment_ptr 1
		.amdhsa_user_sgpr_dispatch_id 0
		.amdhsa_user_sgpr_flat_scratch_init 0
		.amdhsa_user_sgpr_private_segment_size 0
		.amdhsa_wavefront_size32 1
		.amdhsa_uses_dynamic_stack 0
		.amdhsa_system_sgpr_private_segment_wavefront_offset 0
		.amdhsa_system_sgpr_workgroup_id_x 1
		.amdhsa_system_sgpr_workgroup_id_y 0
		.amdhsa_system_sgpr_workgroup_id_z 0
		.amdhsa_system_sgpr_workgroup_info 0
		.amdhsa_system_vgpr_workitem_id 0
		.amdhsa_next_free_vgpr 113
		.amdhsa_next_free_sgpr 27
		.amdhsa_reserve_vcc 1
		.amdhsa_reserve_flat_scratch 0
		.amdhsa_float_round_mode_32 0
		.amdhsa_float_round_mode_16_64 0
		.amdhsa_float_denorm_mode_32 3
		.amdhsa_float_denorm_mode_16_64 3
		.amdhsa_dx10_clamp 1
		.amdhsa_ieee_mode 1
		.amdhsa_fp16_overflow 0
		.amdhsa_workgroup_processor_mode 1
		.amdhsa_memory_ordered 1
		.amdhsa_forward_progress 0
		.amdhsa_shared_vgpr_count 0
		.amdhsa_exception_fp_ieee_invalid_op 0
		.amdhsa_exception_fp_denorm_src 0
		.amdhsa_exception_fp_ieee_div_zero 0
		.amdhsa_exception_fp_ieee_overflow 0
		.amdhsa_exception_fp_ieee_underflow 0
		.amdhsa_exception_fp_ieee_inexact 0
		.amdhsa_exception_int_div_zero 0
	.end_amdhsa_kernel
	.text
.Lfunc_end0:
	.size	fft_rtc_fwd_len90_factors_3_3_10_wgs_63_tpt_9_halfLds_dp_op_CI_CI_unitstride_sbrr_dirReg, .Lfunc_end0-fft_rtc_fwd_len90_factors_3_3_10_wgs_63_tpt_9_halfLds_dp_op_CI_CI_unitstride_sbrr_dirReg
                                        ; -- End function
	.section	.AMDGPU.csdata,"",@progbits
; Kernel info:
; codeLenInByte = 5832
; NumSgprs: 29
; NumVgprs: 113
; ScratchSize: 0
; MemoryBound: 1
; FloatMode: 240
; IeeeMode: 1
; LDSByteSize: 0 bytes/workgroup (compile time only)
; SGPRBlocks: 3
; VGPRBlocks: 14
; NumSGPRsForWavesPerEU: 29
; NumVGPRsForWavesPerEU: 113
; Occupancy: 8
; WaveLimiterHint : 1
; COMPUTE_PGM_RSRC2:SCRATCH_EN: 0
; COMPUTE_PGM_RSRC2:USER_SGPR: 6
; COMPUTE_PGM_RSRC2:TRAP_HANDLER: 0
; COMPUTE_PGM_RSRC2:TGID_X_EN: 1
; COMPUTE_PGM_RSRC2:TGID_Y_EN: 0
; COMPUTE_PGM_RSRC2:TGID_Z_EN: 0
; COMPUTE_PGM_RSRC2:TIDIG_COMP_CNT: 0
	.text
	.p2alignl 6, 3214868480
	.fill 48, 4, 3214868480
	.type	__hip_cuid_de80e6e23449c029,@object ; @__hip_cuid_de80e6e23449c029
	.section	.bss,"aw",@nobits
	.globl	__hip_cuid_de80e6e23449c029
__hip_cuid_de80e6e23449c029:
	.byte	0                               ; 0x0
	.size	__hip_cuid_de80e6e23449c029, 1

	.ident	"AMD clang version 19.0.0git (https://github.com/RadeonOpenCompute/llvm-project roc-6.4.0 25133 c7fe45cf4b819c5991fe208aaa96edf142730f1d)"
	.section	".note.GNU-stack","",@progbits
	.addrsig
	.addrsig_sym __hip_cuid_de80e6e23449c029
	.amdgpu_metadata
---
amdhsa.kernels:
  - .args:
      - .actual_access:  read_only
        .address_space:  global
        .offset:         0
        .size:           8
        .value_kind:     global_buffer
      - .offset:         8
        .size:           8
        .value_kind:     by_value
      - .actual_access:  read_only
        .address_space:  global
        .offset:         16
        .size:           8
        .value_kind:     global_buffer
      - .actual_access:  read_only
        .address_space:  global
        .offset:         24
        .size:           8
        .value_kind:     global_buffer
      - .actual_access:  read_only
        .address_space:  global
        .offset:         32
        .size:           8
        .value_kind:     global_buffer
      - .offset:         40
        .size:           8
        .value_kind:     by_value
      - .actual_access:  read_only
        .address_space:  global
        .offset:         48
        .size:           8
        .value_kind:     global_buffer
      - .actual_access:  read_only
        .address_space:  global
        .offset:         56
        .size:           8
        .value_kind:     global_buffer
      - .offset:         64
        .size:           4
        .value_kind:     by_value
      - .actual_access:  read_only
        .address_space:  global
        .offset:         72
        .size:           8
        .value_kind:     global_buffer
      - .actual_access:  read_only
        .address_space:  global
        .offset:         80
        .size:           8
        .value_kind:     global_buffer
      - .actual_access:  read_only
        .address_space:  global
        .offset:         88
        .size:           8
        .value_kind:     global_buffer
      - .actual_access:  write_only
        .address_space:  global
        .offset:         96
        .size:           8
        .value_kind:     global_buffer
    .group_segment_fixed_size: 0
    .kernarg_segment_align: 8
    .kernarg_segment_size: 104
    .language:       OpenCL C
    .language_version:
      - 2
      - 0
    .max_flat_workgroup_size: 63
    .name:           fft_rtc_fwd_len90_factors_3_3_10_wgs_63_tpt_9_halfLds_dp_op_CI_CI_unitstride_sbrr_dirReg
    .private_segment_fixed_size: 0
    .sgpr_count:     29
    .sgpr_spill_count: 0
    .symbol:         fft_rtc_fwd_len90_factors_3_3_10_wgs_63_tpt_9_halfLds_dp_op_CI_CI_unitstride_sbrr_dirReg.kd
    .uniform_work_group_size: 1
    .uses_dynamic_stack: false
    .vgpr_count:     113
    .vgpr_spill_count: 0
    .wavefront_size: 32
    .workgroup_processor_mode: 1
amdhsa.target:   amdgcn-amd-amdhsa--gfx1030
amdhsa.version:
  - 1
  - 2
...

	.end_amdgpu_metadata
